;; amdgpu-corpus repo=ROCm/rocFFT kind=compiled arch=gfx1201 opt=O3
	.text
	.amdgcn_target "amdgcn-amd-amdhsa--gfx1201"
	.amdhsa_code_object_version 6
	.protected	fft_rtc_fwd_len243_factors_3_3_3_3_3_wgs_216_tpt_27_sp_op_CI_CI_sbrc_unaligned_dirReg ; -- Begin function fft_rtc_fwd_len243_factors_3_3_3_3_3_wgs_216_tpt_27_sp_op_CI_CI_sbrc_unaligned_dirReg
	.globl	fft_rtc_fwd_len243_factors_3_3_3_3_3_wgs_216_tpt_27_sp_op_CI_CI_sbrc_unaligned_dirReg
	.p2align	8
	.type	fft_rtc_fwd_len243_factors_3_3_3_3_3_wgs_216_tpt_27_sp_op_CI_CI_sbrc_unaligned_dirReg,@function
fft_rtc_fwd_len243_factors_3_3_3_3_3_wgs_216_tpt_27_sp_op_CI_CI_sbrc_unaligned_dirReg: ; @fft_rtc_fwd_len243_factors_3_3_3_3_3_wgs_216_tpt_27_sp_op_CI_CI_sbrc_unaligned_dirReg
; %bb.0:
	s_clause 0x1
	s_load_b256 s[4:11], s[0:1], 0x0
	s_load_b64 s[26:27], s[0:1], 0x20
	s_mov_b32 s31, 0
	s_mov_b64 s[36:37], 2
	s_mov_b32 s23, s31
	s_wait_kmcnt 0x0
	s_load_b32 s33, s[8:9], 0x8
	s_load_b128 s[16:19], s[10:11], 0x0
	s_load_b128 s[12:15], s[26:27], 0x0
	s_wait_kmcnt 0x0
	s_add_co_i32 s2, s33, -1
	s_delay_alu instid0(SALU_CYCLE_1) | instskip(NEXT) | instid1(SALU_CYCLE_1)
	s_lshr_b32 s2, s2, 3
	s_add_co_i32 s42, s2, 1
	s_delay_alu instid0(SALU_CYCLE_1) | instskip(SKIP_1) | instid1(SALU_CYCLE_2)
	s_cvt_f32_u32 s2, s42
	s_sub_co_i32 s3, 0, s42
	v_rcp_iflag_f32_e32 v1, s2
	s_delay_alu instid0(TRANS32_DEP_1) | instskip(NEXT) | instid1(VALU_DEP_1)
	v_readfirstlane_b32 s2, v1
	s_mul_f32 s2, s2, 0x4f7ffffe
	s_wait_alu 0xfffe
	s_delay_alu instid0(SALU_CYCLE_2) | instskip(SKIP_1) | instid1(SALU_CYCLE_2)
	s_cvt_u32_f32 s2, s2
	s_wait_alu 0xfffe
	s_mul_i32 s3, s3, s2
	s_wait_alu 0xfffe
	s_mul_hi_u32 s3, s2, s3
	s_wait_alu 0xfffe
	s_add_co_i32 s2, s2, s3
	s_wait_alu 0xfffe
	s_mul_hi_u32 s3, ttmp9, s2
	s_wait_alu 0xfffe
	s_mul_i32 s2, s3, s42
	s_add_co_i32 s19, s3, 1
	s_wait_alu 0xfffe
	s_sub_co_i32 s15, ttmp9, s2
	s_mov_b32 s2, 3
	s_sub_co_i32 s20, s15, s42
	s_cmp_ge_u32 s15, s42
	s_cselect_b32 s3, s19, s3
	s_cselect_b32 s15, s20, s15
	s_wait_alu 0xfffe
	s_add_co_i32 s19, s3, 1
	s_cmp_ge_u32 s15, s42
	s_cselect_b32 s24, s19, s3
	v_cmp_gt_u64_e64 s3, s[6:7], 2
	s_mul_i32 s15, s24, s42
	s_delay_alu instid0(SALU_CYCLE_1) | instskip(NEXT) | instid1(SALU_CYCLE_1)
	s_sub_co_i32 s15, ttmp9, s15
	s_lshl_b32 s22, s15, 3
	s_delay_alu instid0(VALU_DEP_1)
	s_and_b32 vcc_lo, exec_lo, s3
	s_mul_i32 s30, s22, s18
	s_mul_u64 s[20:21], s[12:13], s[22:23]
	s_cbranch_vccz .LBB0_8
; %bb.1:
	s_mov_b32 s34, ttmp9
	s_mov_b32 s35, s31
	s_mov_b64 s[28:29], s[30:31]
	s_mov_b32 s30, s24
.LBB0_2:                                ; =>This Inner Loop Header: Depth=1
	s_lshl_b64 s[36:37], s[36:37], 3
	s_mov_b32 s38, s31
	s_add_nc_u64 s[24:25], s[8:9], s[36:37]
	s_load_b64 s[24:25], s[24:25], 0x0
	s_wait_kmcnt 0x0
	s_mov_b32 s39, s25
	s_delay_alu instid0(SALU_CYCLE_1)
	s_cmp_lg_u64 s[38:39], 0
	s_cbranch_scc0 .LBB0_7
; %bb.3:                                ;   in Loop: Header=BB0_2 Depth=1
	s_cvt_f32_u32 s3, s24
	s_cvt_f32_u32 s15, s25
	s_sub_nc_u64 s[44:45], 0, s[24:25]
	s_mov_b32 s39, 0
	s_mov_b32 s49, s31
	s_wait_alu 0xfffe
	s_fmamk_f32 s3, s15, 0x4f800000, s3
	s_wait_alu 0xfffe
	s_delay_alu instid0(SALU_CYCLE_2) | instskip(NEXT) | instid1(TRANS32_DEP_1)
	v_s_rcp_f32 s3, s3
	s_mul_f32 s3, s3, 0x5f7ffffc
	s_wait_alu 0xfffe
	s_delay_alu instid0(SALU_CYCLE_2) | instskip(NEXT) | instid1(SALU_CYCLE_3)
	s_mul_f32 s15, s3, 0x2f800000
	s_trunc_f32 s15, s15
	s_delay_alu instid0(SALU_CYCLE_3) | instskip(SKIP_2) | instid1(SALU_CYCLE_1)
	s_fmamk_f32 s3, s15, 0xcf800000, s3
	s_cvt_u32_f32 s41, s15
	s_wait_alu 0xfffe
	s_cvt_u32_f32 s40, s3
	s_wait_alu 0xfffe
	s_delay_alu instid0(SALU_CYCLE_2)
	s_mul_u64 s[46:47], s[44:45], s[40:41]
	s_wait_alu 0xfffe
	s_mul_hi_u32 s51, s40, s47
	s_mul_i32 s50, s40, s47
	s_mul_hi_u32 s38, s40, s46
	s_mul_i32 s15, s41, s46
	s_add_nc_u64 s[50:51], s[38:39], s[50:51]
	s_mul_hi_u32 s3, s41, s46
	s_mul_hi_u32 s19, s41, s47
	s_add_co_u32 s15, s50, s15
	s_wait_alu 0xfffe
	s_add_co_ci_u32 s48, s51, s3
	s_mul_i32 s46, s41, s47
	s_add_co_ci_u32 s47, s19, 0
	s_wait_alu 0xfffe
	s_add_nc_u64 s[46:47], s[48:49], s[46:47]
	s_wait_alu 0xfffe
	v_add_co_u32 v1, s3, s40, s46
	s_delay_alu instid0(VALU_DEP_1) | instskip(SKIP_1) | instid1(VALU_DEP_1)
	s_cmp_lg_u32 s3, 0
	s_add_co_ci_u32 s41, s41, s47
	v_readfirstlane_b32 s40, v1
	s_mov_b32 s47, s31
	s_wait_alu 0xfffe
	s_delay_alu instid0(VALU_DEP_1)
	s_mul_u64 s[44:45], s[44:45], s[40:41]
	s_wait_alu 0xfffe
	s_mul_hi_u32 s49, s40, s45
	s_mul_i32 s48, s40, s45
	s_mul_hi_u32 s38, s40, s44
	s_mul_i32 s15, s41, s44
	s_add_nc_u64 s[48:49], s[38:39], s[48:49]
	s_mul_hi_u32 s3, s41, s44
	s_mul_hi_u32 s19, s41, s45
	s_add_co_u32 s15, s48, s15
	s_wait_alu 0xfffe
	s_add_co_ci_u32 s46, s49, s3
	s_mul_i32 s44, s41, s45
	s_add_co_ci_u32 s45, s19, 0
	s_wait_alu 0xfffe
	s_add_nc_u64 s[44:45], s[46:47], s[44:45]
	s_mov_b32 s46, s31
	s_wait_alu 0xfffe
	v_add_co_u32 v1, s3, v1, s44
	s_delay_alu instid0(VALU_DEP_1) | instskip(SKIP_1) | instid1(VALU_DEP_1)
	s_cmp_lg_u32 s3, 0
	s_add_co_ci_u32 s15, s41, s45
	v_readfirstlane_b32 s3, v1
	s_mul_hi_u32 s45, s30, s15
	s_mul_i32 s44, s30, s15
	s_mov_b32 s41, s31
	s_delay_alu instid0(VALU_DEP_1)
	s_mul_hi_u32 s38, s30, s3
	s_wait_alu 0xfffe
	s_add_nc_u64 s[44:45], s[38:39], s[44:45]
	s_wait_alu 0xfffe
	s_mov_b32 s40, s45
	s_wait_alu 0xfffe
	s_or_b64 s[40:41], s[40:41], s[46:47]
	s_mov_b32 s40, s45
	s_wait_alu 0xfffe
	s_mul_u64 s[46:47], s[24:25], s[40:41]
	s_add_nc_u64 s[48:49], s[40:41], 1
	s_wait_alu 0xfffe
	v_sub_co_u32 v1, s3, s30, s46
	s_sub_co_i32 s15, 0, s47
	s_cmp_lg_u32 s3, 0
	s_add_nc_u64 s[50:51], s[40:41], 2
	s_delay_alu instid0(VALU_DEP_1) | instskip(SKIP_2) | instid1(VALU_DEP_1)
	v_sub_co_u32 v2, s19, v1, s24
	s_sub_co_ci_u32 s15, s15, s25
	s_cmp_lg_u32 s19, 0
	v_readfirstlane_b32 s19, v2
	s_sub_co_ci_u32 s15, s15, 0
	s_delay_alu instid0(SALU_CYCLE_1) | instskip(SKIP_1) | instid1(VALU_DEP_1)
	s_cmp_ge_u32 s15, s25
	s_cselect_b32 s23, -1, 0
	s_cmp_ge_u32 s19, s24
	s_cselect_b32 s19, -1, 0
	s_cmp_eq_u32 s15, s25
	s_cselect_b32 s15, s19, s23
	s_delay_alu instid0(SALU_CYCLE_1)
	s_cmp_lg_u32 s15, 0
	s_cselect_b32 s15, s50, s48
	s_cselect_b32 s19, s51, s49
	s_cmp_lg_u32 s3, 0
	v_readfirstlane_b32 s3, v1
	s_sub_co_ci_u32 s23, 0, s47
	s_delay_alu instid0(SALU_CYCLE_1) | instskip(SKIP_1) | instid1(VALU_DEP_1)
	s_cmp_ge_u32 s23, s25
	s_cselect_b32 s38, -1, 0
	s_cmp_ge_u32 s3, s24
	s_cselect_b32 s3, -1, 0
	s_cmp_eq_u32 s23, s25
	s_wait_alu 0xfffe
	s_cselect_b32 s3, s3, s38
	s_wait_alu 0xfffe
	s_cmp_lg_u32 s3, 0
	s_cselect_b32 s41, s19, s41
	s_cselect_b32 s40, s15, s45
	s_cbranch_execnz .LBB0_5
.LBB0_4:                                ;   in Loop: Header=BB0_2 Depth=1
	v_cvt_f32_u32_e32 v1, s24
	s_sub_co_i32 s15, 0, s24
	s_mov_b32 s41, s31
	s_delay_alu instid0(VALU_DEP_1) | instskip(NEXT) | instid1(TRANS32_DEP_1)
	v_rcp_iflag_f32_e32 v1, v1
	v_mul_f32_e32 v1, 0x4f7ffffe, v1
	s_delay_alu instid0(VALU_DEP_1) | instskip(NEXT) | instid1(VALU_DEP_1)
	v_cvt_u32_f32_e32 v1, v1
	v_readfirstlane_b32 s3, v1
	s_delay_alu instid0(VALU_DEP_1) | instskip(NEXT) | instid1(SALU_CYCLE_1)
	s_mul_i32 s15, s15, s3
	s_mul_hi_u32 s15, s3, s15
	s_delay_alu instid0(SALU_CYCLE_1)
	s_add_co_i32 s3, s3, s15
	s_wait_alu 0xfffe
	s_mul_hi_u32 s3, s30, s3
	s_wait_alu 0xfffe
	s_mul_i32 s15, s3, s24
	s_add_co_i32 s19, s3, 1
	s_sub_co_i32 s15, s30, s15
	s_delay_alu instid0(SALU_CYCLE_1)
	s_sub_co_i32 s23, s15, s24
	s_cmp_ge_u32 s15, s24
	s_cselect_b32 s3, s19, s3
	s_cselect_b32 s15, s23, s15
	s_wait_alu 0xfffe
	s_add_co_i32 s19, s3, 1
	s_cmp_ge_u32 s15, s24
	s_cselect_b32 s40, s19, s3
.LBB0_5:                                ;   in Loop: Header=BB0_2 Depth=1
	s_add_nc_u64 s[38:39], s[10:11], s[36:37]
	s_add_nc_u64 s[36:37], s[26:27], s[36:37]
	s_load_b64 s[38:39], s[38:39], 0x0
	s_load_b64 s[44:45], s[36:37], 0x0
	s_mov_b32 s3, s31
	s_mul_u64 s[36:37], s[40:41], s[24:25]
	s_wait_alu 0xfffe
	v_cmp_ge_u64_e64 s15, s[2:3], s[6:7]
	s_mul_i32 s42, s42, s24
	s_sub_nc_u64 s[24:25], s[30:31], s[36:37]
	s_mov_b64 s[36:37], s[2:3]
	s_add_co_i32 s2, s2, 1
	s_delay_alu instid0(VALU_DEP_1)
	s_and_b32 vcc_lo, exec_lo, s15
	s_wait_kmcnt 0x0
	s_wait_alu 0xfffe
	s_mul_u64 s[38:39], s[38:39], s[24:25]
	s_mul_u64 s[24:25], s[44:45], s[24:25]
	s_add_nc_u64 s[28:29], s[38:39], s[28:29]
	s_wait_alu 0xfffe
	s_add_nc_u64 s[20:21], s[24:25], s[20:21]
	s_cbranch_vccnz .LBB0_9
; %bb.6:                                ;   in Loop: Header=BB0_2 Depth=1
	s_mov_b32 s30, s40
	s_branch .LBB0_2
.LBB0_7:                                ;   in Loop: Header=BB0_2 Depth=1
                                        ; implicit-def: $sgpr40_sgpr41
	s_branch .LBB0_4
.LBB0_8:
	s_mov_b64 s[28:29], s[30:31]
	s_branch .LBB0_10
.LBB0_9:
	s_cvt_f32_u32 s2, s42
	s_sub_co_i32 s3, 0, s42
	s_wait_alu 0xfffe
	s_delay_alu instid0(SALU_CYCLE_1) | instskip(NEXT) | instid1(TRANS32_DEP_1)
	v_rcp_iflag_f32_e32 v1, s2
	v_readfirstlane_b32 s2, v1
	s_delay_alu instid0(VALU_DEP_1) | instskip(SKIP_1) | instid1(SALU_CYCLE_2)
	s_mul_f32 s2, s2, 0x4f7ffffe
	s_wait_alu 0xfffe
	s_cvt_u32_f32 s2, s2
	s_wait_alu 0xfffe
	s_delay_alu instid0(SALU_CYCLE_2)
	s_mul_i32 s3, s3, s2
	s_wait_alu 0xfffe
	s_mul_hi_u32 s8, s2, s3
	s_mov_b32 s3, 0
	s_add_co_i32 s2, s2, s8
	s_wait_alu 0xfffe
	s_mul_u64 s[2:3], s[34:35], s[2:3]
	s_wait_alu 0xfffe
	s_mul_i32 s2, s3, s42
	s_add_co_i32 s8, s3, 1
	s_wait_alu 0xfffe
	s_sub_co_i32 s2, ttmp9, s2
	s_wait_alu 0xfffe
	s_sub_co_i32 s9, s2, s42
	s_cmp_ge_u32 s2, s42
	s_cselect_b32 s3, s8, s3
	s_cselect_b32 s2, s9, s2
	s_wait_alu 0xfffe
	s_add_co_i32 s8, s3, 1
	s_cmp_ge_u32 s2, s42
	s_cselect_b32 s24, s8, s3
.LBB0_10:
	s_lshl_b64 s[6:7], s[6:7], 3
	s_load_b128 s[0:3], s[0:1], 0x58
	s_add_nc_u64 s[8:9], s[10:11], s[6:7]
	s_add_nc_u64 s[6:7], s[26:27], s[6:7]
	s_load_b64 s[8:9], s[8:9], 0x0
	s_load_b64 s[6:7], s[6:7], 0x0
	s_add_co_i32 s10, s22, 8
	s_mov_b32 s25, 0
	s_cmp_le_u32 s10, s33
	s_mov_b32 s10, -1
	s_cselect_b32 s15, -1, 0
	s_delay_alu instid0(SALU_CYCLE_1) | instskip(SKIP_3) | instid1(SALU_CYCLE_1)
	s_and_b32 vcc_lo, exec_lo, s15
	s_wait_kmcnt 0x0
	s_wait_alu 0xfffe
	s_mul_u64 s[8:9], s[8:9], s[24:25]
	s_add_nc_u64 s[8:9], s[8:9], s[28:29]
	s_cbranch_vccnz .LBB0_14
; %bb.11:
	v_dual_mov_b32 v2, 0 :: v_dual_mov_b32 v3, v0
	s_lshl_b64 s[10:11], s[8:9], 3
	s_mov_b32 s19, s25
	s_add_nc_u64 s[10:11], s[0:1], s[10:11]
.LBB0_12:                               ; =>This Inner Loop Header: Depth=1
	s_delay_alu instid0(VALU_DEP_1) | instskip(NEXT) | instid1(VALU_DEP_1)
	v_and_b32_e32 v1, 0xffff, v3
	v_mul_u32_u24_e32 v1, 0xdb3, v1
	s_delay_alu instid0(VALU_DEP_1) | instskip(NEXT) | instid1(VALU_DEP_1)
	v_lshrrev_b32_e32 v1, 16, v1
	v_sub_nc_u16 v4, v3, v1
	s_delay_alu instid0(VALU_DEP_1) | instskip(NEXT) | instid1(VALU_DEP_1)
	v_lshrrev_b16 v4, 1, v4
	v_add_nc_u16 v1, v4, v1
	s_delay_alu instid0(VALU_DEP_1) | instskip(NEXT) | instid1(VALU_DEP_1)
	v_lshrrev_b16 v8, 7, v1
	v_mul_lo_u16 v1, 0xf3, v8
	s_delay_alu instid0(VALU_DEP_1) | instskip(SKIP_1) | instid1(VALU_DEP_2)
	v_sub_nc_u16 v9, v3, v1
	v_add_nc_u32_e32 v3, 0xd8, v3
	v_and_b32_e32 v6, 0xffff, v9
	s_delay_alu instid0(VALU_DEP_1) | instskip(NEXT) | instid1(VALU_DEP_1)
	v_mad_co_u64_u32 v[4:5], null, s16, v6, 0
	v_mov_b32_e32 v1, v5
	s_delay_alu instid0(VALU_DEP_1) | instskip(SKIP_1) | instid1(VALU_DEP_1)
	v_mad_co_u64_u32 v[5:6], null, s17, v6, v[1:2]
	v_and_b32_e32 v1, 0xffff, v8
	v_mul_lo_u32 v1, s18, v1
	s_delay_alu instid0(VALU_DEP_3) | instskip(NEXT) | instid1(VALU_DEP_2)
	v_lshlrev_b64_e32 v[4:5], 3, v[4:5]
	v_lshlrev_b64_e32 v[6:7], 3, v[1:2]
	s_delay_alu instid0(VALU_DEP_2) | instskip(SKIP_1) | instid1(VALU_DEP_3)
	v_add_co_u32 v1, vcc_lo, s10, v4
	s_wait_alu 0xfffd
	v_add_co_ci_u32_e32 v5, vcc_lo, s11, v5, vcc_lo
	s_delay_alu instid0(VALU_DEP_2) | instskip(SKIP_1) | instid1(VALU_DEP_2)
	v_add_co_u32 v4, vcc_lo, v1, v6
	s_wait_alu 0xfffd
	v_add_co_ci_u32_e32 v5, vcc_lo, v5, v7, vcc_lo
	v_lshlrev_b16 v1, 3, v9
	v_cmp_lt_u32_e32 vcc_lo, 0x797, v3
	global_load_b64 v[4:5], v[4:5], off
	v_add_nc_u16 v1, v1, v8
	s_or_b32 s19, vcc_lo, s19
	s_delay_alu instid0(VALU_DEP_1) | instskip(NEXT) | instid1(VALU_DEP_1)
	v_and_b32_e32 v1, 0xffff, v1
	v_lshl_add_u32 v1, v1, 3, 0
	s_wait_loadcnt 0x0
	ds_store_b64 v1, v[4:5]
	s_wait_alu 0xfffe
	s_and_not1_b32 exec_lo, exec_lo, s19
	s_cbranch_execnz .LBB0_12
; %bb.13:
	s_or_b32 exec_lo, exec_lo, s19
	s_mov_b32 s10, 0
.LBB0_14:
	s_wait_alu 0xfffe
	s_and_b32 vcc_lo, exec_lo, s10
	s_wait_alu 0xfffe
	s_cbranch_vccz .LBB0_16
; %bb.15:
	v_add_nc_u16 v5, v0, 0x1b0
	v_add_nc_u16 v1, v0, 0xd8
	v_mul_u32_u24_e32 v2, 0x10e, v0
	v_add_nc_u16 v16, v0, 0x360
	v_add_nc_u16 v14, v0, 0x288
	v_and_b32_e32 v4, 0xffff, v5
	v_and_b32_e32 v3, 0xffff, v1
	v_lshrrev_b32_e32 v28, 16, v2
	v_mov_b32_e32 v2, 0
	v_and_b32_e32 v8, 0xffff, v16
	v_mul_u32_u24_e32 v4, 0x437, v4
	v_mul_u32_u24_e32 v3, 0x10e, v3
	v_mul_lo_u16 v6, 0xf3, v28
	s_lshl_b64 s[8:9], s[8:9], 3
	v_mul_u32_u24_e32 v15, 0x437, v8
	v_lshrrev_b32_e32 v31, 18, v4
	v_lshrrev_b32_e32 v29, 16, v3
	v_sub_nc_u16 v30, v0, v6
	v_and_b32_e32 v6, 0xffff, v14
	s_add_nc_u64 s[0:1], s[0:1], s[8:9]
	v_mul_lo_u16 v7, 0xf3, v31
	v_mul_lo_u16 v3, 0xf3, v29
	v_lshrrev_b32_e32 v36, 18, v15
	v_mul_u32_u24_e32 v9, 0x437, v6
	v_add_nc_u16 v19, v0, 0x6c0
	v_sub_nc_u16 v33, v5, v7
	v_sub_nc_u16 v32, v1, v3
	v_mul_lo_u32 v1, s18, v28
	v_lshrrev_b32_e32 v34, 18, v9
	v_and_b32_e32 v21, 0xffff, v19
	v_and_b32_e32 v17, 0xffff, v33
	s_delay_alu instid0(VALU_DEP_3) | instskip(NEXT) | instid1(VALU_DEP_2)
	v_mul_lo_u16 v18, 0xf3, v34
	v_mad_co_u64_u32 v[7:8], null, s16, v17, 0
	v_and_b32_e32 v13, 0xffff, v32
	s_delay_alu instid0(VALU_DEP_3) | instskip(SKIP_2) | instid1(VALU_DEP_4)
	v_sub_nc_u16 v35, v14, v18
	v_lshlrev_b64_e32 v[9:10], 3, v[1:2]
	v_mul_lo_u32 v1, s18, v29
	v_mad_co_u64_u32 v[5:6], null, s16, v13, 0
	v_and_b32_e32 v11, 0xffff, v30
	s_delay_alu instid0(VALU_DEP_1) | instskip(NEXT) | instid1(VALU_DEP_1)
	v_mad_co_u64_u32 v[3:4], null, s16, v11, 0
	v_mad_co_u64_u32 v[11:12], null, s17, v11, v[4:5]
	s_delay_alu instid0(VALU_DEP_4) | instskip(SKIP_1) | instid1(VALU_DEP_2)
	v_mov_b32_e32 v4, v6
	v_mov_b32_e32 v6, v8
	v_mad_co_u64_u32 v[12:13], null, s17, v13, v[4:5]
	s_delay_alu instid0(VALU_DEP_4) | instskip(NEXT) | instid1(VALU_DEP_3)
	v_mov_b32_e32 v4, v11
	v_mad_co_u64_u32 v[13:14], null, s17, v17, v[6:7]
	v_and_b32_e32 v17, 0xffff, v35
	v_lshlrev_b64_e32 v[14:15], 3, v[1:2]
	s_delay_alu instid0(VALU_DEP_4) | instskip(SKIP_1) | instid1(VALU_DEP_4)
	v_lshlrev_b64_e32 v[3:4], 3, v[3:4]
	v_mov_b32_e32 v6, v12
	v_mad_co_u64_u32 v[11:12], null, s16, v17, 0
	s_delay_alu instid0(VALU_DEP_2) | instskip(NEXT) | instid1(VALU_DEP_4)
	v_lshlrev_b64_e32 v[5:6], 3, v[5:6]
	v_add_co_u32 v1, vcc_lo, s0, v3
	s_wait_alu 0xfffd
	v_add_co_ci_u32_e32 v4, vcc_lo, s1, v4, vcc_lo
	s_delay_alu instid0(VALU_DEP_3)
	v_add_co_u32 v5, vcc_lo, s0, v5
	s_wait_alu 0xfffd
	v_add_co_ci_u32_e32 v6, vcc_lo, s1, v6, vcc_lo
	v_add_co_u32 v3, vcc_lo, v1, v9
	s_wait_alu 0xfffd
	v_add_co_ci_u32_e32 v4, vcc_lo, v4, v10, vcc_lo
	v_add_co_u32 v5, vcc_lo, v5, v14
	v_mov_b32_e32 v1, v12
	s_wait_alu 0xfffd
	v_add_co_ci_u32_e32 v6, vcc_lo, v6, v15, vcc_lo
	v_add_nc_u16 v15, v0, 0x438
	v_mul_lo_u16 v12, 0xf3, v36
	v_mad_co_u64_u32 v[9:10], null, s17, v17, v[1:2]
	v_mul_lo_u32 v1, s18, v31
	s_delay_alu instid0(VALU_DEP_4) | instskip(NEXT) | instid1(VALU_DEP_4)
	v_and_b32_e32 v10, 0xffff, v15
	v_sub_nc_u16 v37, v16, v12
	s_delay_alu instid0(VALU_DEP_2) | instskip(SKIP_1) | instid1(VALU_DEP_3)
	v_mul_u32_u24_e32 v17, 0x437, v10
	v_mov_b32_e32 v12, v9
	v_and_b32_e32 v16, 0xffff, v37
	s_delay_alu instid0(VALU_DEP_3) | instskip(NEXT) | instid1(VALU_DEP_3)
	v_lshrrev_b32_e32 v38, 18, v17
	v_lshlrev_b64_e32 v[9:10], 3, v[11:12]
	s_delay_alu instid0(VALU_DEP_3) | instskip(NEXT) | instid1(VALU_DEP_3)
	v_mad_co_u64_u32 v[11:12], null, s16, v16, 0
	v_mul_lo_u16 v17, 0xf3, v38
	s_delay_alu instid0(VALU_DEP_1) | instskip(SKIP_2) | instid1(VALU_DEP_3)
	v_sub_nc_u16 v39, v15, v17
	v_mov_b32_e32 v8, v13
	v_add_nc_u16 v17, v0, 0x510
	v_and_b32_e32 v15, 0xffff, v39
	s_delay_alu instid0(VALU_DEP_3) | instskip(NEXT) | instid1(VALU_DEP_3)
	v_lshlrev_b64_e32 v[7:8], 3, v[7:8]
	v_and_b32_e32 v18, 0xffff, v17
	s_delay_alu instid0(VALU_DEP_2) | instskip(SKIP_1) | instid1(VALU_DEP_3)
	v_add_co_u32 v13, vcc_lo, s0, v7
	s_wait_alu 0xfffd
	v_add_co_ci_u32_e32 v14, vcc_lo, s1, v8, vcc_lo
	v_lshlrev_b64_e32 v[7:8], 3, v[1:2]
	v_mul_lo_u32 v1, s18, v34
	s_delay_alu instid0(VALU_DEP_2) | instskip(SKIP_1) | instid1(VALU_DEP_3)
	v_add_co_u32 v7, vcc_lo, v13, v7
	s_wait_alu 0xfffd
	v_add_co_ci_u32_e32 v8, vcc_lo, v14, v8, vcc_lo
	s_delay_alu instid0(VALU_DEP_3) | instskip(SKIP_4) | instid1(VALU_DEP_3)
	v_lshlrev_b64_e32 v[13:14], 3, v[1:2]
	v_add_co_u32 v9, vcc_lo, s0, v9
	v_mov_b32_e32 v1, v12
	s_wait_alu 0xfffd
	v_add_co_ci_u32_e32 v10, vcc_lo, s1, v10, vcc_lo
	v_add_co_u32 v9, vcc_lo, v9, v13
	s_delay_alu instid0(VALU_DEP_3)
	v_mad_co_u64_u32 v[12:13], null, s17, v16, v[1:2]
	v_mul_u32_u24_e32 v16, 0x437, v18
	v_add_nc_u16 v18, v0, 0x5e8
	v_mul_lo_u32 v1, s18, v36
	s_wait_alu 0xfffd
	v_add_co_ci_u32_e32 v10, vcc_lo, v10, v14, vcc_lo
	v_lshrrev_b32_e32 v40, 18, v16
	v_and_b32_e32 v16, 0xffff, v18
	v_lshlrev_b64_e32 v[11:12], 3, v[11:12]
	v_mad_co_u64_u32 v[13:14], null, s16, v15, 0
	s_delay_alu instid0(VALU_DEP_4) | instskip(NEXT) | instid1(VALU_DEP_4)
	v_mul_lo_u16 v20, 0xf3, v40
	v_mul_u32_u24_e32 v16, 0x437, v16
	s_clause 0x3
	global_load_b64 v[3:4], v[3:4], off
	global_load_b64 v[5:6], v[5:6], off
	;; [unrolled: 1-line block ×4, first 2 shown]
	v_sub_nc_u16 v41, v17, v20
	v_lshrrev_b32_e32 v42, 18, v16
	v_add_co_u32 v17, vcc_lo, s0, v11
	s_wait_alu 0xfffd
	v_add_co_ci_u32_e32 v20, vcc_lo, s1, v12, vcc_lo
	v_lshlrev_b64_e32 v[11:12], 3, v[1:2]
	v_mul_lo_u16 v1, 0xf3, v42
	v_mad_co_u64_u32 v[14:15], null, s17, v15, v[14:15]
	v_mul_u32_u24_e32 v15, 0x437, v21
	v_and_b32_e32 v21, 0xffff, v41
	s_delay_alu instid0(VALU_DEP_4) | instskip(SKIP_1) | instid1(VALU_DEP_4)
	v_sub_nc_u16 v44, v18, v1
	v_add_co_u32 v11, vcc_lo, v17, v11
	v_lshrrev_b32_e32 v43, 18, v15
	s_delay_alu instid0(VALU_DEP_4) | instskip(NEXT) | instid1(VALU_DEP_4)
	v_mad_co_u64_u32 v[15:16], null, s16, v21, 0
	v_and_b32_e32 v24, 0xffff, v44
	s_wait_alu 0xfffd
	v_add_co_ci_u32_e32 v12, vcc_lo, v20, v12, vcc_lo
	v_mul_lo_u16 v1, 0xf3, v43
	v_lshlrev_b64_e32 v[13:14], 3, v[13:14]
	v_mad_co_u64_u32 v[17:18], null, s16, v24, 0
	s_delay_alu instid0(VALU_DEP_3) | instskip(SKIP_1) | instid1(VALU_DEP_4)
	v_sub_nc_u16 v45, v19, v1
	v_mul_lo_u32 v1, s18, v38
	v_add_co_u32 v25, vcc_lo, s0, v13
	s_wait_alu 0xfffd
	v_add_co_ci_u32_e32 v27, vcc_lo, s1, v14, vcc_lo
	v_mad_co_u64_u32 v[19:20], null, s17, v21, v[16:17]
	v_dual_mov_b32 v13, v18 :: v_dual_and_b32 v26, 0xffff, v45
	v_lshlrev_b64_e32 v[22:23], 3, v[1:2]
	v_mul_lo_u32 v1, s18, v40
	s_delay_alu instid0(VALU_DEP_3) | instskip(SKIP_3) | instid1(VALU_DEP_3)
	v_mad_co_u64_u32 v[20:21], null, s16, v26, 0
	v_mov_b32_e32 v16, v19
	v_mad_co_u64_u32 v[13:14], null, s17, v24, v[13:14]
	v_add_co_u32 v22, vcc_lo, v25, v22
	v_lshlrev_b64_e32 v[15:16], 3, v[15:16]
	v_mov_b32_e32 v14, v21
	s_wait_alu 0xfffd
	v_add_co_ci_u32_e32 v23, vcc_lo, v27, v23, vcc_lo
	v_lshlrev_b64_e32 v[24:25], 3, v[1:2]
	v_mul_lo_u32 v1, s18, v42
	v_mad_co_u64_u32 v[26:27], null, s17, v26, v[14:15]
	v_add_co_u32 v15, vcc_lo, s0, v15
	s_wait_alu 0xfffd
	v_add_co_ci_u32_e32 v16, vcc_lo, s1, v16, vcc_lo
	v_lshlrev_b16 v27, 3, v45
	s_delay_alu instid0(VALU_DEP_3)
	v_add_co_u32 v15, vcc_lo, v15, v24
	v_mov_b32_e32 v21, v26
	s_wait_alu 0xfffd
	v_add_co_ci_u32_e32 v16, vcc_lo, v16, v25, vcc_lo
	v_lshlrev_b16 v24, 3, v39
	v_lshlrev_b16 v25, 3, v41
	v_lshlrev_b64_e32 v[19:20], 3, v[20:21]
	v_lshlrev_b16 v21, 3, v33
	v_lshlrev_b16 v26, 3, v44
	s_delay_alu instid0(VALU_DEP_2) | instskip(NEXT) | instid1(VALU_DEP_1)
	v_or_b32_e32 v21, v21, v31
	v_dual_mov_b32 v18, v13 :: v_dual_and_b32 v21, 0xffff, v21
	s_delay_alu instid0(VALU_DEP_1) | instskip(SKIP_2) | instid1(VALU_DEP_4)
	v_lshlrev_b64_e32 v[13:14], 3, v[17:18]
	v_lshlrev_b64_e32 v[17:18], 3, v[1:2]
	v_mul_lo_u32 v1, s18, v43
	v_lshl_add_u32 v21, v21, 3, 0
	s_delay_alu instid0(VALU_DEP_4)
	v_add_co_u32 v13, vcc_lo, s0, v13
	s_wait_alu 0xfffd
	v_add_co_ci_u32_e32 v14, vcc_lo, s1, v14, vcc_lo
	v_add_co_u32 v19, vcc_lo, s0, v19
	v_lshlrev_b64_e32 v[1:2], 3, v[1:2]
	s_wait_alu 0xfffd
	v_add_co_ci_u32_e32 v20, vcc_lo, s1, v20, vcc_lo
	v_add_co_u32 v13, vcc_lo, v13, v17
	s_wait_alu 0xfffd
	v_add_co_ci_u32_e32 v14, vcc_lo, v14, v18, vcc_lo
	v_add_co_u32 v1, vcc_lo, v19, v1
	s_wait_alu 0xfffd
	v_add_co_ci_u32_e32 v2, vcc_lo, v20, v2, vcc_lo
	s_clause 0x4
	global_load_b64 v[11:12], v[11:12], off
	global_load_b64 v[17:18], v[22:23], off
	;; [unrolled: 1-line block ×5, first 2 shown]
	v_lshlrev_b16 v19, 3, v30
	v_lshlrev_b16 v20, 3, v32
	;; [unrolled: 1-line block ×4, first 2 shown]
	s_delay_alu instid0(VALU_DEP_4) | instskip(NEXT) | instid1(VALU_DEP_4)
	v_or_b32_e32 v19, v19, v28
	v_or_b32_e32 v20, v20, v29
	s_delay_alu instid0(VALU_DEP_4) | instskip(NEXT) | instid1(VALU_DEP_4)
	v_or_b32_e32 v22, v22, v34
	v_add_nc_u16 v23, v23, v36
	s_delay_alu instid0(VALU_DEP_4) | instskip(NEXT) | instid1(VALU_DEP_4)
	v_and_b32_e32 v19, 0xffff, v19
	v_and_b32_e32 v20, 0xffff, v20
	s_delay_alu instid0(VALU_DEP_4) | instskip(NEXT) | instid1(VALU_DEP_3)
	v_and_b32_e32 v22, 0xffff, v22
	v_lshl_add_u32 v19, v19, 3, 0
	s_delay_alu instid0(VALU_DEP_3) | instskip(NEXT) | instid1(VALU_DEP_3)
	v_lshl_add_u32 v20, v20, 3, 0
	v_lshl_add_u32 v22, v22, 3, 0
	s_wait_loadcnt 0x8
	ds_store_b64 v19, v[3:4]
	s_wait_loadcnt 0x7
	ds_store_b64 v20, v[5:6]
	;; [unrolled: 2-line block ×4, first 2 shown]
	v_or_b32_e32 v3, v24, v38
	v_add_nc_u16 v4, v25, v40
	v_add_nc_u16 v5, v26, v42
	;; [unrolled: 1-line block ×3, first 2 shown]
	v_and_b32_e32 v7, 0xffff, v23
	v_and_b32_e32 v3, 0xffff, v3
	;; [unrolled: 1-line block ×5, first 2 shown]
	v_lshl_add_u32 v7, v7, 3, 0
	v_lshl_add_u32 v3, v3, 3, 0
	;; [unrolled: 1-line block ×5, first 2 shown]
	s_wait_loadcnt 0x4
	ds_store_b64 v7, v[11:12]
	s_wait_loadcnt 0x3
	ds_store_b64 v3, v[17:18]
	;; [unrolled: 2-line block ×5, first 2 shown]
.LBB0_16:
	v_lshrrev_b32_e32 v5, 3, v0
	v_and_b32_e32 v4, 7, v0
	global_wb scope:SCOPE_SE
	s_wait_dscnt 0x0
	s_barrier_signal -1
	s_barrier_wait -1
	v_lshlrev_b32_e32 v1, 6, v5
	v_lshlrev_b32_e32 v8, 3, v4
	global_inv scope:SCOPE_SE
	v_add3_u32 v3, 0, v1, v8
	ds_load_2addr_b64 v[9:12], v3 offset1:216
	v_add_nc_u32_e32 v1, 0xd00, v3
	v_add_nc_u32_e32 v2, 0x2800, v3
	;; [unrolled: 1-line block ×3, first 2 shown]
	ds_load_2addr_b64 v[13:16], v1 offset0:16 offset1:232
	ds_load_2addr_b64 v[17:20], v2 offset0:16 offset1:232
	;; [unrolled: 1-line block ×3, first 2 shown]
	ds_load_b64 v[1:2], v3 offset:13824
	global_wb scope:SCOPE_SE
	s_wait_dscnt 0x0
	s_barrier_signal -1
	s_barrier_wait -1
	global_inv scope:SCOPE_SE
	v_dual_add_f32 v6, v9, v15 :: v_dual_add_f32 v7, v15, v17
	v_add_f32_e32 v29, v11, v21
	v_dual_sub_f32 v28, v15, v17 :: v_dual_sub_f32 v31, v22, v20
	v_dual_add_f32 v32, v12, v22 :: v_dual_sub_f32 v33, v21, v19
	v_add_f32_e32 v22, v22, v20
	v_dual_add_f32 v34, v23, v1 :: v_dual_sub_f32 v25, v16, v18
	v_dual_add_f32 v26, v10, v16 :: v_dual_add_f32 v27, v16, v18
	v_dual_add_f32 v30, v21, v19 :: v_dual_sub_f32 v35, v24, v2
	v_dual_add_f32 v21, v13, v23 :: v_dual_add_f32 v36, v24, v2
	v_add_f32_e32 v15, v6, v17
	v_fma_f32 v9, -0.5, v7, v9
	v_dual_add_f32 v17, v29, v19 :: v_dual_fmac_f32 v12, -0.5, v22
	v_fma_f32 v13, -0.5, v34, v13
	v_add_f32_e32 v6, v14, v24
	v_dual_add_f32 v16, v26, v18 :: v_dual_add_f32 v19, v21, v1
	v_fma_f32 v10, -0.5, v27, v10
	v_dual_add_f32 v18, v32, v20 :: v_dual_fmamk_f32 v21, v25, 0x3f5db3d7, v9
	v_dual_fmac_f32 v9, 0xbf5db3d7, v25 :: v_dual_fmamk_f32 v26, v33, 0xbf5db3d7, v12
	v_sub_f32_e32 v1, v23, v1
	v_dual_fmac_f32 v12, 0x3f5db3d7, v33 :: v_dual_fmamk_f32 v23, v35, 0x3f5db3d7, v13
	v_dual_fmac_f32 v13, 0xbf5db3d7, v35 :: v_dual_add_f32 v20, v6, v2
	v_add_nc_u32_e32 v6, 27, v5
	v_fma_f32 v11, -0.5, v30, v11
	v_fmamk_f32 v22, v28, 0xbf5db3d7, v10
	v_fmac_f32_e32 v10, 0x3f5db3d7, v28
	v_lshl_add_u32 v27, v5, 7, v3
	v_mul_hi_u32 v28, 0x55555556, v6
	v_fmamk_f32 v25, v31, 0x3f5db3d7, v11
	v_dual_fmac_f32 v11, 0xbf5db3d7, v31 :: v_dual_fmac_f32 v14, -0.5, v36
	v_add_nc_u32_e32 v7, 54, v5
	v_add_nc_u32_e32 v24, 0x1000, v27
	ds_store_2addr_b64 v27, v[15:16], v[21:22] offset1:8
	v_add_nc_u32_e32 v16, 0x2800, v27
	v_mul_u32_u24_e32 v15, 3, v28
	v_mul_hi_u32 v29, 0x55555556, v7
	ds_store_2addr_b64 v24, v[17:18], v[25:26] offset0:136 offset1:144
	ds_store_b64 v27, v[9:10] offset:128
	ds_store_b64 v27, v[11:12] offset:5312
	;; [unrolled: 1-line block ×3, first 2 shown]
	v_mul_u32_u24_e32 v28, 9, v28
	v_sub_nc_u32_e32 v26, v6, v15
	v_fmamk_f32 v2, v1, 0xbf5db3d7, v14
	v_fmac_f32_e32 v14, 0x3f5db3d7, v1
	v_mul_hi_u32 v1, 0x55555556, v5
	v_mul_u32_u24_e32 v9, 3, v29
	v_add_lshl_u32 v35, v28, v26, 6
	v_mul_hi_u32 v33, 0x38e38e39, v7
	v_mul_u32_u24_e32 v29, 9, v29
	s_delay_alu instid0(VALU_DEP_4) | instskip(NEXT) | instid1(VALU_DEP_4)
	v_sub_nc_u32_e32 v31, v7, v9
	v_add3_u32 v55, 0, v35, v8
	v_lshl_add_u32 v1, v1, 1, v1
	v_lshrrev_b32_e32 v50, 1, v33
	v_add_nc_u32_e32 v33, 0x1440, v27
	s_delay_alu instid0(VALU_DEP_3)
	v_sub_nc_u32_e32 v30, v5, v1
	v_lshlrev_b32_e32 v1, 1, v26
	ds_store_2addr_b32 v16, v23, v2 offset0:48 offset1:49
	v_dual_mov_b32 v2, 0 :: v_dual_add_nc_u32 v27, 0x2880, v27
	v_lshlrev_b32_e32 v11, 4, v30
	ds_store_2addr_b32 v16, v13, v14 offset0:64 offset1:65
	v_lshlrev_b32_e32 v13, 7, v6
	v_lshlrev_b64_e32 v[9:10], 3, v[1:2]
	v_lshlrev_b32_e32 v1, 1, v31
	global_wb scope:SCOPE_SE
	s_wait_dscnt 0x0
	s_barrier_signal -1
	s_barrier_wait -1
	global_inv scope:SCOPE_SE
	global_load_b128 v[14:17], v11, s[4:5]
	v_lshlrev_b64_e32 v[11:12], 3, v[1:2]
	v_add_co_u32 v9, vcc_lo, s4, v9
	s_wait_alu 0xfffd
	v_add_co_ci_u32_e32 v10, vcc_lo, s5, v10, vcc_lo
	v_mul_hi_u32 v1, 0xaaaaaaab, v0
	s_delay_alu instid0(VALU_DEP_4)
	v_add_co_u32 v11, vcc_lo, s4, v11
	s_wait_alu 0xfffd
	v_add_co_ci_u32_e32 v12, vcc_lo, s5, v12, vcc_lo
	s_clause 0x1
	global_load_b128 v[18:21], v[9:10], off
	global_load_b128 v[22:25], v[11:12], off
	v_lshrrev_b32_e32 v1, 4, v1
	v_mul_hi_u32 v11, 0x38e38e39, v6
	v_mul_hi_u32 v9, 0x1c71c71d, v5
	v_lshlrev_b32_e32 v32, 7, v7
	v_add_lshl_u32 v40, v29, v31, 6
	v_mul_u32_u24_e32 v1, 9, v1
	v_mul_hi_u32 v0, 0x38e38e39, v0
	v_lshrrev_b32_e32 v48, 1, v11
	v_add_nc_u32_e32 v11, 0x2f00, v3
	s_delay_alu instid0(VALU_DEP_4)
	v_add_lshl_u32 v34, v1, v30, 6
	v_lshl_add_u32 v9, v9, 3, v9
	v_mul_u32_u24_e32 v30, 9, v50
	v_add3_u32 v56, 0, v40, v8
	v_lshrrev_b32_e32 v0, 4, v0
	v_add3_u32 v54, 0, v34, v8
	ds_load_2addr_b64 v[34:37], v11 offset0:8 offset1:224
	v_add_nc_u32_e32 v12, 0x2100, v3
	v_sub_nc_u32_e32 v49, v5, v9
	v_mul_u32_u24_e32 v9, 9, v48
	v_sub_nc_u32_e32 v53, v7, v30
	v_mul_u32_u24_e32 v0, 27, v0
	s_delay_alu instid0(VALU_DEP_4) | instskip(NEXT) | instid1(VALU_DEP_4)
	v_lshlrev_b32_e32 v52, 4, v49
	v_sub_nc_u32_e32 v51, v6, v9
	v_sub_nc_u32_e32 v9, v33, v13
	;; [unrolled: 1-line block ×3, first 2 shown]
	v_add_lshl_u32 v0, v0, v49, 6
	s_wait_loadcnt_dscnt 0x100
	v_mul_f32_e32 v59, v21, v35
	v_mul_f32_e32 v21, v21, v34
	ds_load_2addr_b64 v[30:33], v12 offset0:24 offset1:240
	v_add_nc_u32_e32 v10, 0x1400, v3
	v_fmac_f32_e32 v21, v20, v35
	s_wait_dscnt 0x0
	v_mul_f32_e32 v57, v17, v33
	v_mul_f32_e32 v17, v17, v32
	ds_load_2addr_b64 v[26:29], v10 offset0:8 offset1:224
	ds_load_b64 v[42:43], v3
	ds_load_b64 v[44:45], v9
	ds_load_2addr_b32 v[46:47], v13 offset1:1
	v_lshlrev_b32_e32 v1, 1, v51
	s_wait_loadcnt 0x0
	v_dual_mul_f32 v60, v23, v31 :: v_dual_fmac_f32 v17, v16, v33
	global_wb scope:SCOPE_SE
	s_wait_dscnt 0x0
	s_barrier_signal -1
	v_lshlrev_b64_e32 v[38:39], 3, v[1:2]
	v_lshlrev_b32_e32 v1, 1, v53
	s_barrier_wait -1
	global_inv scope:SCOPE_SE
	v_lshlrev_b64_e32 v[40:41], 3, v[1:2]
	v_add_co_u32 v38, vcc_lo, s4, v38
	s_wait_alu 0xfffd
	v_add_co_ci_u32_e32 v39, vcc_lo, s5, v39, vcc_lo
	v_mul_f32_e32 v1, v15, v27
	v_mul_f32_e32 v15, v15, v26
	v_mul_f32_e32 v58, v19, v29
	v_mul_f32_e32 v19, v19, v28
	s_delay_alu instid0(VALU_DEP_4) | instskip(NEXT) | instid1(VALU_DEP_2)
	v_fma_f32 v1, v14, v26, -v1
	v_fmac_f32_e32 v19, v18, v29
	v_fmac_f32_e32 v15, v14, v27
	v_fma_f32 v14, v16, v32, -v57
	v_fma_f32 v16, v18, v28, -v58
	;; [unrolled: 1-line block ×4, first 2 shown]
	s_delay_alu instid0(VALU_DEP_4) | instskip(NEXT) | instid1(VALU_DEP_3)
	v_add_f32_e32 v26, v1, v14
	v_sub_f32_e32 v34, v16, v18
	v_sub_f32_e32 v32, v19, v21
	v_dual_mul_f32 v61, v37, v25 :: v_dual_add_f32 v28, v43, v15
	v_sub_f32_e32 v27, v15, v17
	v_dual_mul_f32 v23, v23, v30 :: v_dual_add_f32 v30, v44, v16
	v_mul_f32_e32 v25, v36, v25
	v_add_f32_e32 v35, v46, v20
	s_delay_alu instid0(VALU_DEP_3) | instskip(SKIP_1) | instid1(VALU_DEP_1)
	v_fmac_f32_e32 v23, v22, v31
	v_fma_f32 v22, v36, v24, -v61
	v_add_f32_e32 v36, v20, v22
	s_delay_alu instid0(VALU_DEP_3) | instskip(NEXT) | instid1(VALU_DEP_2)
	v_dual_sub_f32 v58, v20, v22 :: v_dual_add_f32 v57, v47, v23
	v_fma_f32 v46, -0.5, v36, v46
	v_add_f32_e32 v31, v16, v18
	v_dual_add_f32 v16, v30, v18 :: v_dual_fmac_f32 v25, v37, v24
	v_add_f32_e32 v24, v42, v1
	v_fma_f32 v42, -0.5, v26, v42
	s_delay_alu instid0(VALU_DEP_4)
	v_fma_f32 v44, -0.5, v31, v44
	v_add_f32_e32 v18, v35, v22
	v_add_f32_e32 v29, v15, v17
	v_sub_f32_e32 v1, v1, v14
	v_sub_f32_e32 v37, v23, v25
	v_dual_add_f32 v33, v45, v19 :: v_dual_add_f32 v14, v24, v14
	v_fmamk_f32 v20, v27, 0x3f5db3d7, v42
	v_add_f32_e32 v19, v19, v21
	v_dual_add_f32 v23, v23, v25 :: v_dual_fmamk_f32 v22, v32, 0x3f5db3d7, v44
	v_fmac_f32_e32 v43, -0.5, v29
	v_add_f32_e32 v15, v28, v17
	s_delay_alu instid0(VALU_DEP_4) | instskip(NEXT) | instid1(VALU_DEP_4)
	v_fmac_f32_e32 v45, -0.5, v19
	v_dual_fmac_f32 v47, -0.5, v23 :: v_dual_fmac_f32 v44, 0xbf5db3d7, v32
	v_fmamk_f32 v24, v37, 0x3f5db3d7, v46
	v_fmac_f32_e32 v46, 0xbf5db3d7, v37
	v_add_f32_e32 v17, v33, v21
	v_dual_fmamk_f32 v21, v1, 0xbf5db3d7, v43 :: v_dual_fmac_f32 v42, 0xbf5db3d7, v27
	v_fmac_f32_e32 v43, 0x3f5db3d7, v1
	v_fmamk_f32 v23, v34, 0xbf5db3d7, v45
	v_fmac_f32_e32 v45, 0x3f5db3d7, v34
	v_add_f32_e32 v19, v57, v25
	v_fmamk_f32 v25, v58, 0xbf5db3d7, v47
	v_fmac_f32_e32 v47, 0x3f5db3d7, v58
	ds_store_2addr_b64 v54, v[14:15], v[20:21] offset1:24
	ds_store_b64 v54, v[42:43] offset:384
	ds_store_2addr_b64 v55, v[16:17], v[22:23] offset1:24
	ds_store_b64 v55, v[44:45] offset:384
	;; [unrolled: 2-line block ×3, first 2 shown]
	v_add_co_u32 v22, vcc_lo, s4, v40
	s_wait_alu 0xfffd
	v_add_co_ci_u32_e32 v23, vcc_lo, s5, v41, vcc_lo
	global_wb scope:SCOPE_SE
	s_wait_dscnt 0x0
	s_barrier_signal -1
	s_barrier_wait -1
	global_inv scope:SCOPE_SE
	s_clause 0x2
	global_load_b128 v[14:17], v52, s[4:5] offset:48
	global_load_b128 v[18:21], v[38:39], off offset:48
	global_load_b128 v[22:25], v[22:23], off offset:48
	v_mul_hi_u32 v46, 0x97b425f, v5
	v_mul_hi_u32 v26, 0x4bda12f7, v7
	v_mul_u32_u24_e32 v28, 27, v50
	ds_load_2addr_b64 v[30:33], v12 offset0:24 offset1:240
	v_mul_hi_u32 v1, 0x4bda12f7, v6
	v_add_lshl_u32 v40, v28, v53, 6
	v_mul_lo_u32 v27, v46, 27
	v_lshrrev_b32_e32 v52, 3, v26
	s_delay_alu instid0(VALU_DEP_3) | instskip(SKIP_1) | instid1(VALU_DEP_3)
	v_add3_u32 v55, 0, v40, v8
	v_lshrrev_b32_e32 v47, 3, v1
	v_mul_u32_u24_e32 v26, 27, v52
	v_sub_nc_u32_e32 v54, v5, v27
	v_mul_u32_u24_e32 v27, 27, v48
	s_delay_alu instid0(VALU_DEP_4) | instskip(NEXT) | instid1(VALU_DEP_4)
	v_mul_u32_u24_e32 v1, 27, v47
	v_sub_nc_u32_e32 v50, v7, v26
	s_delay_alu instid0(VALU_DEP_4) | instskip(NEXT) | instid1(VALU_DEP_4)
	v_lshlrev_b32_e32 v48, 4, v54
	v_add_lshl_u32 v34, v27, v51, 6
	ds_load_2addr_b64 v[26:29], v10 offset0:8 offset1:224
	v_sub_nc_u32_e32 v49, v6, v1
	v_add3_u32 v51, 0, v0, v8
	v_add3_u32 v53, 0, v34, v8
	ds_load_2addr_b64 v[34:37], v11 offset0:8 offset1:224
	ds_load_b64 v[40:41], v3
	ds_load_b64 v[42:43], v9
	ds_load_2addr_b32 v[44:45], v13 offset1:1
	global_wb scope:SCOPE_SE
	s_wait_loadcnt_dscnt 0x0
	s_barrier_signal -1
	s_barrier_wait -1
	global_inv scope:SCOPE_SE
	v_mul_f32_e32 v57, v17, v33
	v_mul_f32_e32 v58, v19, v29
	;; [unrolled: 1-line block ×5, first 2 shown]
	v_dual_mul_f32 v17, v17, v32 :: v_dual_mul_f32 v56, v15, v27
	s_delay_alu instid0(VALU_DEP_4) | instskip(NEXT) | instid1(VALU_DEP_3)
	v_dual_fmac_f32 v19, v18, v29 :: v_dual_mul_f32 v60, v23, v31
	v_fmac_f32_e32 v21, v20, v35
	s_delay_alu instid0(VALU_DEP_3)
	v_fmac_f32_e32 v17, v16, v33
	v_mul_f32_e32 v23, v23, v30
	v_mul_f32_e32 v61, v37, v25
	;; [unrolled: 1-line block ×3, first 2 shown]
	v_sub_f32_e32 v33, v19, v21
	v_mul_f32_e32 v15, v15, v26
	v_fma_f32 v26, v14, v26, -v56
	v_fmac_f32_e32 v23, v22, v31
	v_fmac_f32_e32 v25, v37, v24
	s_delay_alu instid0(VALU_DEP_4)
	v_fmac_f32_e32 v15, v14, v27
	v_fma_f32 v14, v16, v32, -v57
	v_fma_f32 v16, v18, v28, -v58
	;; [unrolled: 1-line block ×5, first 2 shown]
	v_add_f32_e32 v27, v26, v14
	v_add_f32_e32 v24, v40, v26
	v_sub_f32_e32 v28, v15, v17
	v_add_f32_e32 v32, v16, v18
	v_add_f32_e32 v30, v15, v17
	v_fma_f32 v40, -0.5, v27, v40
	v_lshlrev_b32_e32 v1, 1, v49
	v_add_f32_e32 v31, v42, v16
	v_add_f32_e32 v36, v44, v20
	;; [unrolled: 1-line block ×3, first 2 shown]
	v_sub_f32_e32 v58, v20, v22
	v_fma_f32 v42, -0.5, v32, v42
	v_fmamk_f32 v20, v28, 0x3f5db3d7, v40
	v_fmac_f32_e32 v40, 0xbf5db3d7, v28
	v_lshlrev_b64_e32 v[38:39], 3, v[1:2]
	v_dual_add_f32 v34, v43, v19 :: v_dual_lshlrev_b32 v1, 1, v50
	v_add_f32_e32 v19, v19, v21
	v_dual_sub_f32 v56, v23, v25 :: v_dual_add_f32 v57, v45, v23
	v_add_f32_e32 v23, v23, v25
	v_dual_add_f32 v29, v41, v15 :: v_dual_sub_f32 v26, v26, v14
	v_fmac_f32_e32 v41, -0.5, v30
	v_sub_f32_e32 v35, v16, v18
	v_add_f32_e32 v16, v31, v18
	v_add_f32_e32 v18, v36, v22
	v_fmamk_f32 v22, v33, 0x3f5db3d7, v42
	v_lshlrev_b64_e32 v[0:1], 3, v[1:2]
	v_fmac_f32_e32 v43, -0.5, v19
	v_add_co_u32 v38, vcc_lo, s4, v38
	v_fma_f32 v44, -0.5, v37, v44
	v_dual_fmac_f32 v45, -0.5, v23 :: v_dual_add_f32 v14, v24, v14
	v_add_f32_e32 v15, v29, v17
	v_add_f32_e32 v17, v34, v21
	v_fmamk_f32 v21, v26, 0xbf5db3d7, v41
	s_wait_alu 0xfffd
	v_add_co_ci_u32_e32 v39, vcc_lo, s5, v39, vcc_lo
	v_fmac_f32_e32 v41, 0x3f5db3d7, v26
	v_fmamk_f32 v23, v35, 0xbf5db3d7, v43
	v_add_co_u32 v0, vcc_lo, s4, v0
	v_fmac_f32_e32 v42, 0xbf5db3d7, v33
	v_fmac_f32_e32 v43, 0x3f5db3d7, v35
	v_dual_add_f32 v19, v57, v25 :: v_dual_fmamk_f32 v24, v56, 0x3f5db3d7, v44
	v_fmamk_f32 v25, v58, 0xbf5db3d7, v45
	s_wait_alu 0xfffd
	v_add_co_ci_u32_e32 v1, vcc_lo, s5, v1, vcc_lo
	v_fmac_f32_e32 v44, 0xbf5db3d7, v56
	v_fmac_f32_e32 v45, 0x3f5db3d7, v58
	ds_store_2addr_b64 v51, v[14:15], v[20:21] offset1:72
	ds_store_b64 v51, v[40:41] offset:1152
	ds_store_2addr_b64 v53, v[16:17], v[22:23] offset1:72
	ds_store_b64 v53, v[42:43] offset:1152
	;; [unrolled: 2-line block ×3, first 2 shown]
	global_wb scope:SCOPE_SE
	s_wait_dscnt 0x0
	s_barrier_signal -1
	s_barrier_wait -1
	global_inv scope:SCOPE_SE
	s_clause 0x2
	global_load_b128 v[14:17], v48, s[4:5] offset:192
	global_load_b128 v[18:21], v[38:39], off offset:192
	global_load_b128 v[22:25], v[0:1], off offset:192
	v_or_b32_e32 v0, s22, v4
	v_mul_u32_u24_e32 v1, 0x51, v46
	v_mul_u32_u24_e32 v34, 0x51, v47
	ds_load_2addr_b64 v[26:29], v10 offset0:8 offset1:224
	ds_load_2addr_b64 v[30:33], v12 offset0:24 offset1:240
	v_cmp_gt_u32_e32 vcc_lo, s33, v0
	v_add_lshl_u32 v0, v1, v54, 6
	v_add_lshl_u32 v1, v34, v49, 6
	ds_load_2addr_b64 v[34:37], v11 offset0:8 offset1:224
	v_mul_u32_u24_e32 v38, 0x51, v52
	s_or_b32 s0, s15, vcc_lo
	v_add3_u32 v42, 0, v0, v8
	v_add3_u32 v43, 0, v1, v8
	s_delay_alu instid0(VALU_DEP_3) | instskip(NEXT) | instid1(VALU_DEP_1)
	v_add_lshl_u32 v38, v38, v50, 6
	v_add3_u32 v8, 0, v38, v8
	ds_load_b64 v[0:1], v3
	ds_load_b64 v[38:39], v9
	ds_load_2addr_b32 v[40:41], v13 offset1:1
	global_wb scope:SCOPE_SE
	s_wait_loadcnt_dscnt 0x0
	s_barrier_signal -1
	s_barrier_wait -1
	global_inv scope:SCOPE_SE
	v_mul_f32_e32 v44, v15, v27
	v_mul_f32_e32 v15, v15, v26
	v_mul_f32_e32 v45, v17, v33
	v_dual_mul_f32 v17, v17, v32 :: v_dual_mul_f32 v46, v19, v29
	v_mul_f32_e32 v19, v19, v28
	v_mul_f32_e32 v47, v21, v35
	v_dual_mul_f32 v21, v21, v34 :: v_dual_mul_f32 v48, v23, v31
	v_mul_f32_e32 v23, v23, v30
	v_mul_f32_e32 v49, v37, v25
	v_mul_f32_e32 v25, v36, v25
	v_fma_f32 v26, v14, v26, -v44
	v_fmac_f32_e32 v15, v14, v27
	v_fma_f32 v14, v16, v32, -v45
	v_fmac_f32_e32 v17, v16, v33
	v_fma_f32 v16, v18, v28, -v46
	v_fmac_f32_e32 v19, v18, v29
	v_fma_f32 v18, v20, v34, -v47
	v_fmac_f32_e32 v21, v20, v35
	v_fma_f32 v20, v22, v30, -v48
	v_fmac_f32_e32 v23, v22, v31
	v_fma_f32 v22, v36, v24, -v49
	v_fmac_f32_e32 v25, v37, v24
	v_dual_add_f32 v27, v26, v14 :: v_dual_add_f32 v30, v15, v17
	v_dual_add_f32 v32, v16, v18 :: v_dual_sub_f32 v33, v19, v21
	v_add_f32_e32 v34, v39, v19
	v_add_f32_e32 v19, v19, v21
	v_dual_add_f32 v37, v20, v22 :: v_dual_sub_f32 v44, v23, v25
	v_add_f32_e32 v45, v41, v23
	v_dual_add_f32 v23, v23, v25 :: v_dual_add_f32 v24, v0, v26
	v_dual_sub_f32 v28, v15, v17 :: v_dual_add_f32 v29, v1, v15
	v_sub_f32_e32 v26, v26, v14
	v_fma_f32 v0, -0.5, v27, v0
	v_fmac_f32_e32 v1, -0.5, v30
	v_add_f32_e32 v31, v38, v16
	v_sub_f32_e32 v35, v16, v18
	v_add_f32_e32 v36, v40, v20
	v_fma_f32 v38, -0.5, v32, v38
	v_dual_fmac_f32 v39, -0.5, v19 :: v_dual_sub_f32 v46, v20, v22
	v_fma_f32 v40, -0.5, v37, v40
	v_dual_fmac_f32 v41, -0.5, v23 :: v_dual_add_f32 v14, v24, v14
	v_add_f32_e32 v15, v29, v17
	v_dual_add_f32 v17, v34, v21 :: v_dual_fmamk_f32 v20, v28, 0x3f5db3d7, v0
	v_dual_fmamk_f32 v21, v26, 0xbf5db3d7, v1 :: v_dual_fmac_f32 v0, 0xbf5db3d7, v28
	v_fmac_f32_e32 v1, 0x3f5db3d7, v26
	v_add_f32_e32 v16, v31, v18
	v_add_f32_e32 v18, v36, v22
	v_fmamk_f32 v22, v33, 0x3f5db3d7, v38
	v_dual_fmamk_f32 v23, v35, 0xbf5db3d7, v39 :: v_dual_fmac_f32 v38, 0xbf5db3d7, v33
	v_fmac_f32_e32 v39, 0x3f5db3d7, v35
	v_dual_add_f32 v19, v45, v25 :: v_dual_fmamk_f32 v24, v44, 0x3f5db3d7, v40
	v_dual_fmamk_f32 v25, v46, 0xbf5db3d7, v41 :: v_dual_fmac_f32 v40, 0xbf5db3d7, v44
	v_fmac_f32_e32 v41, 0x3f5db3d7, v46
	ds_store_2addr_b64 v42, v[14:15], v[20:21] offset1:216
	ds_store_b64 v42, v[0:1] offset:3456
	ds_store_2addr_b64 v43, v[16:17], v[22:23] offset1:216
	ds_store_b64 v43, v[38:39] offset:3456
	ds_store_2addr_b64 v8, v[18:19], v[24:25] offset1:216
	ds_store_b64 v8, v[40:41] offset:3456
	global_wb scope:SCOPE_SE
	s_wait_dscnt 0x0
	s_barrier_signal -1
	s_barrier_wait -1
	global_inv scope:SCOPE_SE
	s_wait_alu 0xfffe
	s_and_saveexec_b32 s1, s0
	s_cbranch_execz .LBB0_18
; %bb.17:
	v_mul_hi_u32 v0, 0x1948b0fd, v5
	v_mul_hi_u32 v1, 0x1948b0fd, v7
	;; [unrolled: 1-line block ×3, first 2 shown]
	v_mad_co_u64_u32 v[34:35], null, s12, v4, 0
	s_mul_u64 s[0:1], s[6:7], s[24:25]
	s_mul_i32 s6, s14, 0x51
	ds_load_2addr_b64 v[26:29], v12 offset0:24 offset1:240
	v_lshrrev_b32_e32 v0, 3, v0
	v_lshrrev_b32_e32 v44, 3, v1
	;; [unrolled: 1-line block ×3, first 2 shown]
	ds_load_2addr_b64 v[30:33], v11 offset0:8 offset1:224
	s_wait_alu 0xfffe
	s_lshl_b64 s[0:1], s[0:1], 3
	v_mul_u32_u24_e32 v0, 0x51, v0
	s_wait_alu 0xfffe
	s_add_nc_u64 s[0:1], s[2:3], s[0:1]
	v_mul_u32_u24_e32 v18, 0x51, v8
	s_delay_alu instid0(VALU_DEP_2) | instskip(SKIP_1) | instid1(VALU_DEP_2)
	v_sub_nc_u32_e32 v5, v5, v0
	v_mul_u32_u24_e32 v0, 0x51, v44
	v_lshlrev_b32_e32 v1, 4, v5
	s_delay_alu instid0(VALU_DEP_2) | instskip(SKIP_3) | instid1(VALU_DEP_2)
	v_sub_nc_u32_e32 v0, v7, v0
	global_load_b128 v[14:17], v1, s[4:5] offset:624
	v_lshlrev_b32_e32 v1, 1, v0
	v_sub_nc_u32_e32 v0, v6, v18
	v_lshlrev_b64_e32 v[18:19], 3, v[1:2]
	s_delay_alu instid0(VALU_DEP_2) | instskip(NEXT) | instid1(VALU_DEP_1)
	v_lshlrev_b32_e32 v1, 1, v0
	v_lshlrev_b64_e32 v[0:1], 3, v[1:2]
	s_delay_alu instid0(VALU_DEP_3) | instskip(SKIP_1) | instid1(VALU_DEP_4)
	v_add_co_u32 v18, vcc_lo, s4, v18
	s_wait_alu 0xfffd
	v_add_co_ci_u32_e32 v19, vcc_lo, s5, v19, vcc_lo
	s_delay_alu instid0(VALU_DEP_3)
	v_add_co_u32 v0, vcc_lo, s4, v0
	global_load_b128 v[18:21], v[18:19], off offset:624
	s_wait_alu 0xfffd
	v_add_co_ci_u32_e32 v1, vcc_lo, s5, v1, vcc_lo
	s_lshl_b64 s[4:5], s[20:21], 3
	s_wait_alu 0xfffe
	s_add_nc_u64 s[0:1], s[0:1], s[4:5]
	global_load_b128 v[22:25], v[0:1], off offset:624
	v_mul_lo_u32 v1, v5, s14
	v_mov_b32_e32 v0, v35
	ds_load_2addr_b32 v[36:37], v13 offset1:1
	ds_load_2addr_b64 v[10:13], v10 offset0:8 offset1:224
	v_mad_co_u64_u32 v[4:5], null, s13, v4, v[0:1]
	v_lshlrev_b64_e32 v[38:39], 3, v[1:2]
	v_mad_u32_u24 v0, 0xa2, v8, v6
	ds_load_b64 v[8:9], v9
	ds_load_b64 v[40:41], v3
	v_add_nc_u32_e32 v1, s6, v1
	v_mov_b32_e32 v35, v4
	s_delay_alu instid0(VALU_DEP_2) | instskip(SKIP_1) | instid1(VALU_DEP_3)
	v_lshlrev_b64_e32 v[4:5], 3, v[1:2]
	v_add_nc_u32_e32 v1, s6, v1
	v_lshlrev_b64_e32 v[34:35], 3, v[34:35]
	s_delay_alu instid0(VALU_DEP_2) | instskip(SKIP_3) | instid1(VALU_DEP_4)
	v_lshlrev_b64_e32 v[42:43], 3, v[1:2]
	v_mul_lo_u32 v1, v0, s14
	v_mad_u32_u24 v0, 0xa2, v44, v7
	s_wait_alu 0xfffe
	v_add_co_u32 v50, vcc_lo, s0, v34
	s_wait_alu 0xfffd
	v_add_co_ci_u32_e32 v51, vcc_lo, s1, v35, vcc_lo
	s_delay_alu instid0(VALU_DEP_2)
	v_add_co_u32 v6, vcc_lo, v50, v38
	v_lshlrev_b64_e32 v[34:35], 3, v[1:2]
	v_add_nc_u32_e32 v1, s6, v1
	s_wait_alu 0xfffd
	v_add_co_ci_u32_e32 v7, vcc_lo, v51, v39, vcc_lo
	v_add_co_u32 v3, vcc_lo, v50, v4
	s_delay_alu instid0(VALU_DEP_3) | instskip(SKIP_4) | instid1(VALU_DEP_3)
	v_lshlrev_b64_e32 v[38:39], 3, v[1:2]
	v_add_nc_u32_e32 v1, s6, v1
	s_wait_alu 0xfffd
	v_add_co_ci_u32_e32 v4, vcc_lo, v51, v5, vcc_lo
	v_add_co_u32 v42, vcc_lo, v50, v42
	v_lshlrev_b64_e32 v[44:45], 3, v[1:2]
	v_mul_lo_u32 v1, v0, s14
	s_wait_alu 0xfffd
	v_add_co_ci_u32_e32 v43, vcc_lo, v51, v43, vcc_lo
	v_add_co_u32 v34, vcc_lo, v50, v34
	s_wait_alu 0xfffd
	v_add_co_ci_u32_e32 v35, vcc_lo, v51, v35, vcc_lo
	v_add_co_u32 v38, vcc_lo, v50, v38
	v_lshlrev_b64_e32 v[46:47], 3, v[1:2]
	v_add_nc_u32_e32 v1, s6, v1
	s_wait_alu 0xfffd
	v_add_co_ci_u32_e32 v39, vcc_lo, v51, v39, vcc_lo
	v_add_co_u32 v44, vcc_lo, v50, v44
	s_delay_alu instid0(VALU_DEP_3) | instskip(SKIP_4) | instid1(VALU_DEP_3)
	v_lshlrev_b64_e32 v[48:49], 3, v[1:2]
	v_add_nc_u32_e32 v1, s6, v1
	s_wait_alu 0xfffd
	v_add_co_ci_u32_e32 v45, vcc_lo, v51, v45, vcc_lo
	v_add_co_u32 v46, vcc_lo, v50, v46
	v_lshlrev_b64_e32 v[0:1], 3, v[1:2]
	s_wait_alu 0xfffd
	v_add_co_ci_u32_e32 v47, vcc_lo, v51, v47, vcc_lo
	v_add_co_u32 v48, vcc_lo, v50, v48
	s_wait_alu 0xfffd
	v_add_co_ci_u32_e32 v49, vcc_lo, v51, v49, vcc_lo
	v_add_co_u32 v0, vcc_lo, v50, v0
	s_wait_alu 0xfffd
	v_add_co_ci_u32_e32 v1, vcc_lo, v51, v1, vcc_lo
	s_wait_loadcnt_dscnt 0x202
	v_dual_mul_f32 v2, v15, v11 :: v_dual_mul_f32 v5, v17, v29
	s_delay_alu instid0(VALU_DEP_1) | instskip(NEXT) | instid1(VALU_DEP_2)
	v_fma_f32 v2, v14, v10, -v2
	v_fma_f32 v5, v16, v28, -v5
	v_mul_f32_e32 v15, v15, v10
	s_delay_alu instid0(VALU_DEP_2) | instskip(NEXT) | instid1(VALU_DEP_2)
	v_dual_mul_f32 v17, v17, v28 :: v_dual_add_f32 v28, v2, v5
	v_fmac_f32_e32 v15, v14, v11
	s_delay_alu instid0(VALU_DEP_2)
	v_fmac_f32_e32 v17, v16, v29
	v_sub_f32_e32 v16, v2, v5
	s_wait_dscnt 0x0
	v_add_f32_e32 v2, v40, v2
	v_add_f32_e32 v14, v41, v15
	v_add_f32_e32 v10, v15, v17
	v_sub_f32_e32 v29, v15, v17
	s_wait_loadcnt 0x1
	v_dual_mul_f32 v50, v19, v27 :: v_dual_mul_f32 v51, v33, v21
	v_mul_f32_e32 v21, v32, v21
	v_mul_f32_e32 v19, v19, v26
	v_add_f32_e32 v15, v14, v17
	v_add_f32_e32 v14, v2, v5
	v_fma_f32 v2, v18, v26, -v50
	v_fma_f32 v26, v32, v20, -v51
	v_fmac_f32_e32 v21, v33, v20
	s_wait_loadcnt 0x0
	v_mul_f32_e32 v20, v23, v12
	v_fma_f32 v11, -0.5, v10, v41
	v_fma_f32 v10, -0.5, v28, v40
	v_mul_f32_e32 v5, v23, v13
	global_store_b64 v[6:7], v[14:15], off
	v_add_f32_e32 v15, v2, v26
	v_fmac_f32_e32 v20, v22, v13
	v_fmac_f32_e32 v19, v18, v27
	v_mul_f32_e32 v18, v25, v31
	v_mul_f32_e32 v23, v25, v30
	v_sub_f32_e32 v14, v2, v26
	s_delay_alu instid0(VALU_DEP_4)
	v_dual_add_f32 v25, v36, v2 :: v_dual_add_f32 v6, v19, v21
	v_fma_f32 v12, v22, v12, -v5
	v_fma_f32 v18, v24, v30, -v18
	v_fmac_f32_e32 v23, v24, v31
	v_fma_f32 v2, -0.5, v15, v36
	v_fmamk_f32 v17, v16, 0x3f5db3d7, v11
	v_dual_fmac_f32 v11, 0xbf5db3d7, v16 :: v_dual_fmamk_f32 v16, v29, 0xbf5db3d7, v10
	v_dual_fmac_f32 v10, 0x3f5db3d7, v29 :: v_dual_add_f32 v7, v37, v19
	s_clause 0x1
	global_store_b64 v[3:4], v[10:11], off
	global_store_b64 v[42:43], v[16:17], off
	v_fma_f32 v3, -0.5, v6, v37
	v_add_f32_e32 v6, v20, v23
	v_add_f32_e32 v11, v12, v18
	;; [unrolled: 1-line block ×3, first 2 shown]
	v_dual_sub_f32 v15, v12, v18 :: v_dual_add_f32 v10, v9, v20
	v_sub_f32_e32 v16, v20, v23
	v_add_f32_e32 v12, v8, v12
	v_fma_f32 v7, -0.5, v6, v9
	v_fma_f32 v6, -0.5, v11, v8
	v_dual_add_f32 v11, v10, v23 :: v_dual_add_f32 v4, v25, v26
	s_delay_alu instid0(VALU_DEP_3) | instskip(NEXT) | instid1(VALU_DEP_3)
	v_dual_add_f32 v10, v12, v18 :: v_dual_fmamk_f32 v13, v15, 0x3f5db3d7, v7
	v_dual_fmamk_f32 v12, v16, 0xbf5db3d7, v6 :: v_dual_sub_f32 v19, v19, v21
	v_fmac_f32_e32 v7, 0xbf5db3d7, v15
	v_dual_fmac_f32 v6, 0x3f5db3d7, v16 :: v_dual_fmamk_f32 v9, v14, 0x3f5db3d7, v3
	s_delay_alu instid0(VALU_DEP_3)
	v_dual_fmac_f32 v3, 0xbf5db3d7, v14 :: v_dual_fmamk_f32 v8, v19, 0xbf5db3d7, v2
	v_fmac_f32_e32 v2, 0x3f5db3d7, v19
	s_clause 0x5
	global_store_b64 v[34:35], v[10:11], off
	global_store_b64 v[38:39], v[6:7], off
	;; [unrolled: 1-line block ×6, first 2 shown]
.LBB0_18:
	s_nop 0
	s_sendmsg sendmsg(MSG_DEALLOC_VGPRS)
	s_endpgm
	.section	.rodata,"a",@progbits
	.p2align	6, 0x0
	.amdhsa_kernel fft_rtc_fwd_len243_factors_3_3_3_3_3_wgs_216_tpt_27_sp_op_CI_CI_sbrc_unaligned_dirReg
		.amdhsa_group_segment_fixed_size 0
		.amdhsa_private_segment_fixed_size 0
		.amdhsa_kernarg_size 104
		.amdhsa_user_sgpr_count 2
		.amdhsa_user_sgpr_dispatch_ptr 0
		.amdhsa_user_sgpr_queue_ptr 0
		.amdhsa_user_sgpr_kernarg_segment_ptr 1
		.amdhsa_user_sgpr_dispatch_id 0
		.amdhsa_user_sgpr_private_segment_size 0
		.amdhsa_wavefront_size32 1
		.amdhsa_uses_dynamic_stack 0
		.amdhsa_enable_private_segment 0
		.amdhsa_system_sgpr_workgroup_id_x 1
		.amdhsa_system_sgpr_workgroup_id_y 0
		.amdhsa_system_sgpr_workgroup_id_z 0
		.amdhsa_system_sgpr_workgroup_info 0
		.amdhsa_system_vgpr_workitem_id 0
		.amdhsa_next_free_vgpr 62
		.amdhsa_next_free_sgpr 52
		.amdhsa_reserve_vcc 1
		.amdhsa_float_round_mode_32 0
		.amdhsa_float_round_mode_16_64 0
		.amdhsa_float_denorm_mode_32 3
		.amdhsa_float_denorm_mode_16_64 3
		.amdhsa_fp16_overflow 0
		.amdhsa_workgroup_processor_mode 1
		.amdhsa_memory_ordered 1
		.amdhsa_forward_progress 0
		.amdhsa_round_robin_scheduling 0
		.amdhsa_exception_fp_ieee_invalid_op 0
		.amdhsa_exception_fp_denorm_src 0
		.amdhsa_exception_fp_ieee_div_zero 0
		.amdhsa_exception_fp_ieee_overflow 0
		.amdhsa_exception_fp_ieee_underflow 0
		.amdhsa_exception_fp_ieee_inexact 0
		.amdhsa_exception_int_div_zero 0
	.end_amdhsa_kernel
	.text
.Lfunc_end0:
	.size	fft_rtc_fwd_len243_factors_3_3_3_3_3_wgs_216_tpt_27_sp_op_CI_CI_sbrc_unaligned_dirReg, .Lfunc_end0-fft_rtc_fwd_len243_factors_3_3_3_3_3_wgs_216_tpt_27_sp_op_CI_CI_sbrc_unaligned_dirReg
                                        ; -- End function
	.section	.AMDGPU.csdata,"",@progbits
; Kernel info:
; codeLenInByte = 7444
; NumSgprs: 54
; NumVgprs: 62
; ScratchSize: 0
; MemoryBound: 0
; FloatMode: 240
; IeeeMode: 1
; LDSByteSize: 0 bytes/workgroup (compile time only)
; SGPRBlocks: 6
; VGPRBlocks: 7
; NumSGPRsForWavesPerEU: 54
; NumVGPRsForWavesPerEU: 62
; Occupancy: 16
; WaveLimiterHint : 1
; COMPUTE_PGM_RSRC2:SCRATCH_EN: 0
; COMPUTE_PGM_RSRC2:USER_SGPR: 2
; COMPUTE_PGM_RSRC2:TRAP_HANDLER: 0
; COMPUTE_PGM_RSRC2:TGID_X_EN: 1
; COMPUTE_PGM_RSRC2:TGID_Y_EN: 0
; COMPUTE_PGM_RSRC2:TGID_Z_EN: 0
; COMPUTE_PGM_RSRC2:TIDIG_COMP_CNT: 0
	.text
	.p2alignl 7, 3214868480
	.fill 96, 4, 3214868480
	.type	__hip_cuid_6cd528938e3b4edf,@object ; @__hip_cuid_6cd528938e3b4edf
	.section	.bss,"aw",@nobits
	.globl	__hip_cuid_6cd528938e3b4edf
__hip_cuid_6cd528938e3b4edf:
	.byte	0                               ; 0x0
	.size	__hip_cuid_6cd528938e3b4edf, 1

	.ident	"AMD clang version 19.0.0git (https://github.com/RadeonOpenCompute/llvm-project roc-6.4.0 25133 c7fe45cf4b819c5991fe208aaa96edf142730f1d)"
	.section	".note.GNU-stack","",@progbits
	.addrsig
	.addrsig_sym __hip_cuid_6cd528938e3b4edf
	.amdgpu_metadata
---
amdhsa.kernels:
  - .args:
      - .actual_access:  read_only
        .address_space:  global
        .offset:         0
        .size:           8
        .value_kind:     global_buffer
      - .offset:         8
        .size:           8
        .value_kind:     by_value
      - .actual_access:  read_only
        .address_space:  global
        .offset:         16
        .size:           8
        .value_kind:     global_buffer
      - .actual_access:  read_only
        .address_space:  global
        .offset:         24
        .size:           8
        .value_kind:     global_buffer
      - .actual_access:  read_only
        .address_space:  global
        .offset:         32
        .size:           8
        .value_kind:     global_buffer
      - .offset:         40
        .size:           8
        .value_kind:     by_value
      - .actual_access:  read_only
        .address_space:  global
        .offset:         48
        .size:           8
        .value_kind:     global_buffer
      - .actual_access:  read_only
        .address_space:  global
        .offset:         56
        .size:           8
        .value_kind:     global_buffer
      - .offset:         64
        .size:           4
        .value_kind:     by_value
      - .actual_access:  read_only
        .address_space:  global
        .offset:         72
        .size:           8
        .value_kind:     global_buffer
      - .actual_access:  read_only
        .address_space:  global
        .offset:         80
        .size:           8
        .value_kind:     global_buffer
      - .actual_access:  read_only
        .address_space:  global
        .offset:         88
        .size:           8
        .value_kind:     global_buffer
      - .actual_access:  write_only
        .address_space:  global
        .offset:         96
        .size:           8
        .value_kind:     global_buffer
    .group_segment_fixed_size: 0
    .kernarg_segment_align: 8
    .kernarg_segment_size: 104
    .language:       OpenCL C
    .language_version:
      - 2
      - 0
    .max_flat_workgroup_size: 216
    .name:           fft_rtc_fwd_len243_factors_3_3_3_3_3_wgs_216_tpt_27_sp_op_CI_CI_sbrc_unaligned_dirReg
    .private_segment_fixed_size: 0
    .sgpr_count:     54
    .sgpr_spill_count: 0
    .symbol:         fft_rtc_fwd_len243_factors_3_3_3_3_3_wgs_216_tpt_27_sp_op_CI_CI_sbrc_unaligned_dirReg.kd
    .uniform_work_group_size: 1
    .uses_dynamic_stack: false
    .vgpr_count:     62
    .vgpr_spill_count: 0
    .wavefront_size: 32
    .workgroup_processor_mode: 1
amdhsa.target:   amdgcn-amd-amdhsa--gfx1201
amdhsa.version:
  - 1
  - 2
...

	.end_amdgpu_metadata
